;; amdgpu-corpus repo=zjin-lcf/HeCBench kind=compiled arch=gfx1250 opt=O3
	.amdgcn_target "amdgcn-amd-amdhsa--gfx1250"
	.amdhsa_code_object_version 6
	.text
	.protected	_Z14generate_tablePiii  ; -- Begin function _Z14generate_tablePiii
	.globl	_Z14generate_tablePiii
	.p2align	8
	.type	_Z14generate_tablePiii,@function
_Z14generate_tablePiii:                 ; @_Z14generate_tablePiii
; %bb.0:
	s_clause 0x1
	s_load_b32 s3, s[0:1], 0x1c
	s_load_b64 s[4:5], s[0:1], 0x8
	s_bfe_u32 s2, ttmp6, 0x4000c
	s_and_b32 s6, ttmp6, 15
	s_add_co_i32 s2, s2, 1
	s_getreg_b32 s7, hwreg(HW_REG_IB_STS2, 6, 4)
	s_mul_i32 s2, ttmp9, s2
	s_delay_alu instid0(SALU_CYCLE_1)
	s_add_co_i32 s6, s6, s2
	s_cmp_eq_u32 s7, 0
	s_cselect_b32 s2, ttmp9, s6
	s_mov_b32 s6, exec_lo
	s_wait_kmcnt 0x0
	s_and_b32 s3, s3, 0xffff
	s_delay_alu instid0(SALU_CYCLE_1) | instskip(NEXT) | instid1(VALU_DEP_1)
	v_mad_u32 v2, s2, s3, v0
	v_cmpx_gt_i32_e64 s4, v2
	s_cbranch_execz .LBB0_8
; %bb.1:
	s_add_nc_u64 s[6:7], s[0:1], 16
	s_load_b32 s7, s[6:7], 0x0
	s_wait_kmcnt 0x0
	s_mul_i32 s6, s7, s3
	s_add_co_i32 s2, s2, s7
	s_cvt_f32_u32 s8, s6
	s_mul_i32 s2, s2, s3
	s_delay_alu instid0(SALU_CYCLE_1) | instskip(NEXT) | instid1(SALU_CYCLE_1)
	v_add_nc_u32_e32 v3, s2, v0
	v_rcp_iflag_f32_e32 v1, s8
	s_load_b64 s[8:9], s[0:1], 0x0
	s_wait_xcnt 0x0
	s_mov_b32 s1, -1
	v_cmp_gt_i32_e32 vcc_lo, s4, v3
	s_delay_alu instid0(TRANS32_DEP_1) | instskip(SKIP_4) | instid1(SALU_CYCLE_2)
	v_readfirstlane_b32 s3, v1
	v_max_i32_e32 v1, s4, v3
	v_add_co_ci_u32_e64 v0, null, s2, v0, vcc_lo
	s_mul_f32 s3, s3, 0x4f7ffffe
	v_sub_nc_u32_e32 v0, v1, v0
	s_cvt_u32_f32 s2, s3
	s_sub_co_i32 s3, 0, s6
	s_delay_alu instid0(SALU_CYCLE_2) | instskip(NEXT) | instid1(SALU_CYCLE_1)
	s_mul_i32 s3, s3, s2
	s_mul_hi_u32 s3, s2, s3
	s_delay_alu instid0(SALU_CYCLE_1) | instskip(NEXT) | instid1(SALU_CYCLE_1)
	s_add_co_i32 s2, s2, s3
	v_mul_hi_u32 v1, v0, s2
	s_delay_alu instid0(VALU_DEP_1) | instskip(NEXT) | instid1(VALU_DEP_1)
	v_mul_lo_u32 v3, v1, s6
	v_sub_nc_u32_e32 v0, v0, v3
	s_delay_alu instid0(VALU_DEP_1) | instskip(SKIP_1) | instid1(VALU_DEP_1)
	v_subrev_nc_u32_e32 v4, s6, v0
	v_cmp_le_u32_e64 s2, s6, v0
	v_dual_add_nc_u32 v3, 1, v1 :: v_dual_cndmask_b32 v0, v0, v4, s2
	s_delay_alu instid0(VALU_DEP_1) | instskip(NEXT) | instid1(VALU_DEP_2)
	v_cndmask_b32_e64 v1, v1, v3, s2
	v_cmp_le_u32_e64 s0, s6, v0
	s_delay_alu instid0(VALU_DEP_2) | instskip(NEXT) | instid1(VALU_DEP_1)
	v_add_nc_u32_e32 v3, 1, v1
	v_cndmask_b32_e64 v0, v1, v3, s0
	s_mov_b32 s0, exec_lo
	s_delay_alu instid0(VALU_DEP_1) | instskip(NEXT) | instid1(VALU_DEP_1)
	v_add_co_ci_u32_e64 v4, null, 1, v0, vcc_lo
	v_cmpx_lt_u32_e32 1, v4
	s_cbranch_execz .LBB0_5
; %bb.2:
	v_dual_add_nc_u32 v3, s6, v2 :: v_dual_bitop2_b32 v5, -2, v4 bitop3:0x40
	s_lshl_b32 s2, s6, 1
	s_mov_b32 s1, s5
	s_mov_b32 s3, s5
	s_delay_alu instid0(VALU_DEP_1)
	v_mov_b32_e32 v6, v5
	v_mov_b64_e32 v[0:1], v[2:3]
	s_mov_b32 s10, s2
	s_mov_b32 s7, 0
.LBB0_3:                                ; =>This Inner Loop Header: Depth=1
	s_delay_alu instid0(VALU_DEP_1) | instskip(SKIP_1) | instid1(VALU_DEP_3)
	v_cmp_gt_i32_e32 vcc_lo, s1, v0
	v_dual_cndmask_b32 v3, -1, v0 :: v_dual_add_nc_u32 v6, -2, v6
	v_cmp_gt_i32_e32 vcc_lo, s3, v1
	s_wait_kmcnt 0x0
	global_store_b32 v0, v3, s[8:9] scale_offset
	v_cndmask_b32_e32 v7, -1, v1, vcc_lo
	v_cmp_eq_u32_e32 vcc_lo, 0, v6
	s_wait_xcnt 0x0
	v_add_nc_u32_e32 v0, s2, v0
	global_store_b32 v1, v7, s[8:9] scale_offset
	s_wait_xcnt 0x0
	v_add_nc_u32_e32 v1, s10, v1
	s_or_b32 s7, vcc_lo, s7
	s_delay_alu instid0(SALU_CYCLE_1)
	s_and_not1_b32 exec_lo, exec_lo, s7
	s_cbranch_execnz .LBB0_3
; %bb.4:
	s_or_b32 exec_lo, exec_lo, s7
	v_mad_u32 v2, v5, s6, v2
	v_cmp_ne_u32_e32 vcc_lo, v4, v5
	s_or_not1_b32 s1, vcc_lo, exec_lo
.LBB0_5:
	s_or_b32 exec_lo, exec_lo, s0
	s_delay_alu instid0(SALU_CYCLE_1)
	s_and_b32 exec_lo, exec_lo, s1
	s_cbranch_execz .LBB0_8
; %bb.6:
	s_delay_alu instid0(VALU_DEP_2)
	v_ashrrev_i32_e32 v3, 31, v2
	s_ashr_i32 s7, s6, 31
	s_mov_b32 s2, 0
	s_lshl_b64 s[0:1], s[6:7], 2
	s_wait_kmcnt 0x0
	v_lshl_add_u64 v[0:1], v[2:3], 2, s[8:9]
.LBB0_7:                                ; =>This Inner Loop Header: Depth=1
	v_cmp_gt_i32_e32 vcc_lo, s5, v2
	v_dual_cndmask_b32 v3, -1, v2 :: v_dual_add_nc_u32 v2, s6, v2
	global_store_b32 v[0:1], v3, off
	v_cmp_le_i32_e32 vcc_lo, s4, v2
	s_wait_xcnt 0x0
	v_add_nc_u64_e32 v[0:1], s[0:1], v[0:1]
	s_or_b32 s2, vcc_lo, s2
	s_delay_alu instid0(SALU_CYCLE_1)
	s_and_not1_b32 exec_lo, exec_lo, s2
	s_cbranch_execnz .LBB0_7
.LBB0_8:
	s_endpgm
	.section	.rodata,"a",@progbits
	.p2align	6, 0x0
	.amdhsa_kernel _Z14generate_tablePiii
		.amdhsa_group_segment_fixed_size 0
		.amdhsa_private_segment_fixed_size 0
		.amdhsa_kernarg_size 272
		.amdhsa_user_sgpr_count 2
		.amdhsa_user_sgpr_dispatch_ptr 0
		.amdhsa_user_sgpr_queue_ptr 0
		.amdhsa_user_sgpr_kernarg_segment_ptr 1
		.amdhsa_user_sgpr_dispatch_id 0
		.amdhsa_user_sgpr_kernarg_preload_length 0
		.amdhsa_user_sgpr_kernarg_preload_offset 0
		.amdhsa_user_sgpr_private_segment_size 0
		.amdhsa_wavefront_size32 1
		.amdhsa_uses_dynamic_stack 0
		.amdhsa_enable_private_segment 0
		.amdhsa_system_sgpr_workgroup_id_x 1
		.amdhsa_system_sgpr_workgroup_id_y 0
		.amdhsa_system_sgpr_workgroup_id_z 0
		.amdhsa_system_sgpr_workgroup_info 0
		.amdhsa_system_vgpr_workitem_id 0
		.amdhsa_next_free_vgpr 8
		.amdhsa_next_free_sgpr 11
		.amdhsa_named_barrier_count 0
		.amdhsa_reserve_vcc 1
		.amdhsa_float_round_mode_32 0
		.amdhsa_float_round_mode_16_64 0
		.amdhsa_float_denorm_mode_32 3
		.amdhsa_float_denorm_mode_16_64 3
		.amdhsa_fp16_overflow 0
		.amdhsa_memory_ordered 1
		.amdhsa_forward_progress 1
		.amdhsa_inst_pref_size 5
		.amdhsa_round_robin_scheduling 0
		.amdhsa_exception_fp_ieee_invalid_op 0
		.amdhsa_exception_fp_denorm_src 0
		.amdhsa_exception_fp_ieee_div_zero 0
		.amdhsa_exception_fp_ieee_overflow 0
		.amdhsa_exception_fp_ieee_underflow 0
		.amdhsa_exception_fp_ieee_inexact 0
		.amdhsa_exception_int_div_zero 0
	.end_amdhsa_kernel
	.text
.Lfunc_end0:
	.size	_Z14generate_tablePiii, .Lfunc_end0-_Z14generate_tablePiii
                                        ; -- End function
	.set _Z14generate_tablePiii.num_vgpr, 8
	.set _Z14generate_tablePiii.num_agpr, 0
	.set _Z14generate_tablePiii.numbered_sgpr, 11
	.set _Z14generate_tablePiii.num_named_barrier, 0
	.set _Z14generate_tablePiii.private_seg_size, 0
	.set _Z14generate_tablePiii.uses_vcc, 1
	.set _Z14generate_tablePiii.uses_flat_scratch, 0
	.set _Z14generate_tablePiii.has_dyn_sized_stack, 0
	.set _Z14generate_tablePiii.has_recursion, 0
	.set _Z14generate_tablePiii.has_indirect_call, 0
	.section	.AMDGPU.csdata,"",@progbits
; Kernel info:
; codeLenInByte = 592
; TotalNumSgprs: 13
; NumVgprs: 8
; ScratchSize: 0
; MemoryBound: 0
; FloatMode: 240
; IeeeMode: 1
; LDSByteSize: 0 bytes/workgroup (compile time only)
; SGPRBlocks: 0
; VGPRBlocks: 0
; NumSGPRsForWavesPerEU: 13
; NumVGPRsForWavesPerEU: 8
; NamedBarCnt: 0
; Occupancy: 16
; WaveLimiterHint : 0
; COMPUTE_PGM_RSRC2:SCRATCH_EN: 0
; COMPUTE_PGM_RSRC2:USER_SGPR: 2
; COMPUTE_PGM_RSRC2:TRAP_HANDLER: 0
; COMPUTE_PGM_RSRC2:TGID_X_EN: 1
; COMPUTE_PGM_RSRC2:TGID_Y_EN: 0
; COMPUTE_PGM_RSRC2:TGID_Z_EN: 0
; COMPUTE_PGM_RSRC2:TIDIG_COMP_CNT: 0
	.text
	.protected	_Z17bitonic_sort_stepPiiiiPKci ; -- Begin function _Z17bitonic_sort_stepPiiiiPKci
	.globl	_Z17bitonic_sort_stepPiiiiPKci
	.p2align	8
	.type	_Z17bitonic_sort_stepPiiiiPKci,@function
_Z17bitonic_sort_stepPiiiiPKci:         ; @_Z17bitonic_sort_stepPiiiiPKci
; %bb.0:
	s_clause 0x1
	s_load_b32 s2, s[0:1], 0x34
	s_load_b96 s[4:6], s[0:1], 0x8
	s_bfe_u32 s3, ttmp6, 0x4000c
	s_and_b32 s7, ttmp6, 15
	s_add_co_i32 s3, s3, 1
	s_getreg_b32 s8, hwreg(HW_REG_IB_STS2, 6, 4)
	s_mul_i32 s3, ttmp9, s3
	s_delay_alu instid0(SALU_CYCLE_1) | instskip(SKIP_4) | instid1(SALU_CYCLE_1)
	s_add_co_i32 s7, s7, s3
	s_wait_kmcnt 0x0
	s_and_b32 s2, s2, 0xffff
	s_cmp_eq_u32 s8, 0
	s_cselect_b32 s3, ttmp9, s7
	v_mad_u32 v2, s3, s2, v0
	s_mov_b32 s2, exec_lo
	s_delay_alu instid0(VALU_DEP_1) | instskip(NEXT) | instid1(VALU_DEP_1)
	v_xor_b32_e32 v0, s5, v2
	v_min_u32_e32 v1, s4, v0
	s_delay_alu instid0(VALU_DEP_1)
	v_cmpx_gt_u32_e64 v1, v2
	s_cbranch_execz .LBB1_15
; %bb.1:
	s_load_b64 s[4:5], s[0:1], 0x0
	s_mov_b32 s3, -1
	s_wait_kmcnt 0x0
	s_clause 0x1
	global_load_b32 v12, v2, s[4:5] scale_offset
	global_load_b32 v13, v0, s[4:5] scale_offset
	v_and_b32_e32 v1, s6, v2
	s_delay_alu instid0(VALU_DEP_1) | instskip(SKIP_2) | instid1(VALU_DEP_1)
	v_cmp_eq_u32_e32 vcc_lo, 0, v1
	s_wait_loadcnt 0x0
	v_cndmask_b32_e32 v4, v12, v13, vcc_lo
	v_cmp_lt_i32_e64 s2, -1, v4
	s_and_b32 exec_lo, exec_lo, s2
	s_cbranch_execz .LBB1_15
; %bb.2:
	v_cndmask_b32_e32 v6, v13, v12, vcc_lo
	s_mov_b32 s6, exec_lo
	s_delay_alu instid0(VALU_DEP_1)
	v_cmpx_lt_i32_e32 -1, v6
	s_cbranch_execz .LBB1_13
; %bb.3:
	s_load_b32 s7, s[0:1], 0x20
	s_wait_kmcnt 0x0
	s_cmp_lt_i32 s7, 1
	s_cbranch_scc1 .LBB1_11
; %bb.4:
	s_cvt_f32_u32 s2, s7
	v_mov_b32_e32 v7, 0
	s_sub_co_i32 s3, 0, s7
	s_load_b64 s[0:1], s[0:1], 0x18
	v_rcp_iflag_f32_e32 v1, s2
	s_mov_b32 s10, s7
	v_mov_b32_e32 v5, v7
                                        ; implicit-def: $sgpr9
                                        ; implicit-def: $sgpr12
                                        ; implicit-def: $sgpr11
	s_delay_alu instid0(TRANS32_DEP_1) | instskip(SKIP_1) | instid1(SALU_CYCLE_3)
	v_readfirstlane_b32 s2, v1
	s_mul_f32 s2, s2, 0x4f7ffffe
	s_cvt_u32_f32 s2, s2
	s_delay_alu instid0(SALU_CYCLE_3) | instskip(NEXT) | instid1(SALU_CYCLE_1)
	s_mul_i32 s3, s3, s2
	s_mul_hi_u32 s8, s2, s3
	s_mov_b32 s3, 0
	s_add_co_i32 s2, s2, s8
	s_mov_b32 s8, s3
	v_mul_u64_e32 v[8:9], s[2:3], v[6:7]
	v_mul_u64_e32 v[10:11], s[2:3], v[4:5]
	s_branch .LBB1_6
.LBB1_5:                                ;   in Loop: Header=BB1_6 Depth=1
	s_or_b32 exec_lo, exec_lo, s13
	s_delay_alu instid0(SALU_CYCLE_1) | instskip(NEXT) | instid1(SALU_CYCLE_1)
	s_and_b32 s13, exec_lo, s12
	s_or_b32 s8, s13, s8
	s_and_not1_b32 s9, s9, exec_lo
	s_and_b32 s13, s11, exec_lo
	s_delay_alu instid0(SALU_CYCLE_1)
	s_or_b32 s9, s9, s13
	s_and_not1_b32 exec_lo, exec_lo, s8
	s_cbranch_execz .LBB1_8
.LBB1_6:                                ; =>This Inner Loop Header: Depth=1
	s_delay_alu instid0(VALU_DEP_1) | instskip(NEXT) | instid1(VALU_DEP_3)
	v_mul_lo_u32 v1, s7, v11
	v_mul_lo_u32 v5, s7, v9
	v_not_b32_e32 v3, v11
	v_not_b32_e32 v7, v9
	s_or_b32 s11, s11, exec_lo
	s_or_b32 s12, s12, exec_lo
	s_mov_b32 s13, exec_lo
	v_mad_u32 v3, s7, v3, v4
	v_mad_u32 v7, s7, v7, v6
	v_sub_nc_u32_e32 v5, v6, v5
	v_sub_nc_u32_e32 v1, v4, v1
	s_delay_alu instid0(VALU_DEP_1) | instskip(SKIP_1) | instid1(VALU_DEP_4)
	v_cmp_le_u32_e32 vcc_lo, s7, v1
	v_cndmask_b32_e32 v1, v1, v3, vcc_lo
	v_cmp_le_u32_e32 vcc_lo, s7, v5
	v_cndmask_b32_e32 v3, v5, v7, vcc_lo
	s_delay_alu instid0(VALU_DEP_3) | instskip(SKIP_1) | instid1(VALU_DEP_3)
	v_subrev_nc_u32_e32 v5, s7, v1
	v_cmp_le_u32_e32 vcc_lo, s7, v1
	v_subrev_nc_u32_e32 v7, s7, v3
	s_delay_alu instid0(VALU_DEP_3) | instskip(SKIP_1) | instid1(VALU_DEP_3)
	v_cndmask_b32_e32 v5, v1, v5, vcc_lo
	v_cmp_le_u32_e32 vcc_lo, s7, v3
	v_cndmask_b32_e32 v7, v3, v7, vcc_lo
	s_wait_kmcnt 0x0
	s_clause 0x1
	global_load_u8 v1, v5, s[0:1]
	global_load_u8 v3, v7, s[0:1]
	s_wait_loadcnt 0x0
	v_cmpx_eq_u16_e64 v1, v3
	s_cbranch_execz .LBB1_5
; %bb.7:                                ;   in Loop: Header=BB1_6 Depth=1
	s_add_co_i32 s10, s10, -1
	v_add_nc_u64_e32 v[8:9], s[2:3], v[8:9]
	s_cmp_eq_u32 s10, 0
	v_add_nc_u64_e32 v[10:11], s[2:3], v[10:11]
	s_cselect_b32 s14, -1, 0
	v_dual_add_nc_u32 v6, 1, v6 :: v_dual_add_nc_u32 v4, 1, v4
	s_and_not1_b32 s12, s12, exec_lo
	s_and_b32 s14, s14, exec_lo
	s_and_not1_b32 s11, s11, exec_lo
	s_or_b32 s12, s12, s14
	s_branch .LBB1_5
.LBB1_8:
	s_or_b32 exec_lo, exec_lo, s8
	s_mov_b32 s0, 0
                                        ; implicit-def: $sgpr1
	s_and_saveexec_b32 s2, s9
	s_delay_alu instid0(SALU_CYCLE_1)
	s_xor_b32 s2, exec_lo, s2
; %bb.9:
	v_bfe_i32 v3, v3, 0, 8
	v_bfe_i32 v1, v1, 0, 8
	s_mov_b32 s0, exec_lo
	s_delay_alu instid0(VALU_DEP_1)
	v_cmp_lt_i16_e64 s1, v1, v3
; %bb.10:
	s_or_b32 exec_lo, exec_lo, s2
	s_branch .LBB1_12
.LBB1_11:
	s_mov_b32 s0, 0
                                        ; implicit-def: $sgpr1
.LBB1_12:
	s_delay_alu instid0(VALU_DEP_1) | instid1(SALU_CYCLE_1)
	s_and_b32 s0, s0, s1
	s_delay_alu instid0(SALU_CYCLE_1)
	s_or_not1_b32 s3, s0, exec_lo
.LBB1_13:
	s_or_b32 exec_lo, exec_lo, s6
	s_delay_alu instid0(SALU_CYCLE_1)
	s_and_b32 exec_lo, exec_lo, s3
	s_cbranch_execz .LBB1_15
; %bb.14:
	v_mov_b32_e32 v3, 0
	s_delay_alu instid0(VALU_DEP_1) | instskip(SKIP_1) | instid1(VALU_DEP_2)
	v_mov_b32_e32 v1, v3
	v_lshl_add_u64 v[2:3], v[2:3], 2, s[4:5]
	v_lshl_add_u64 v[0:1], v[0:1], 2, s[4:5]
	s_clause 0x1
	global_store_b32 v[2:3], v13, off
	global_store_b32 v[0:1], v12, off
.LBB1_15:
	s_endpgm
	.section	.rodata,"a",@progbits
	.p2align	6, 0x0
	.amdhsa_kernel _Z17bitonic_sort_stepPiiiiPKci
		.amdhsa_group_segment_fixed_size 0
		.amdhsa_private_segment_fixed_size 0
		.amdhsa_kernarg_size 296
		.amdhsa_user_sgpr_count 2
		.amdhsa_user_sgpr_dispatch_ptr 0
		.amdhsa_user_sgpr_queue_ptr 0
		.amdhsa_user_sgpr_kernarg_segment_ptr 1
		.amdhsa_user_sgpr_dispatch_id 0
		.amdhsa_user_sgpr_kernarg_preload_length 0
		.amdhsa_user_sgpr_kernarg_preload_offset 0
		.amdhsa_user_sgpr_private_segment_size 0
		.amdhsa_wavefront_size32 1
		.amdhsa_uses_dynamic_stack 0
		.amdhsa_enable_private_segment 0
		.amdhsa_system_sgpr_workgroup_id_x 1
		.amdhsa_system_sgpr_workgroup_id_y 0
		.amdhsa_system_sgpr_workgroup_id_z 0
		.amdhsa_system_sgpr_workgroup_info 0
		.amdhsa_system_vgpr_workitem_id 0
		.amdhsa_next_free_vgpr 14
		.amdhsa_next_free_sgpr 15
		.amdhsa_named_barrier_count 0
		.amdhsa_reserve_vcc 1
		.amdhsa_float_round_mode_32 0
		.amdhsa_float_round_mode_16_64 0
		.amdhsa_float_denorm_mode_32 3
		.amdhsa_float_denorm_mode_16_64 3
		.amdhsa_fp16_overflow 0
		.amdhsa_memory_ordered 1
		.amdhsa_forward_progress 1
		.amdhsa_inst_pref_size 6
		.amdhsa_round_robin_scheduling 0
		.amdhsa_exception_fp_ieee_invalid_op 0
		.amdhsa_exception_fp_denorm_src 0
		.amdhsa_exception_fp_ieee_div_zero 0
		.amdhsa_exception_fp_ieee_overflow 0
		.amdhsa_exception_fp_ieee_underflow 0
		.amdhsa_exception_fp_ieee_inexact 0
		.amdhsa_exception_int_div_zero 0
	.end_amdhsa_kernel
	.text
.Lfunc_end1:
	.size	_Z17bitonic_sort_stepPiiiiPKci, .Lfunc_end1-_Z17bitonic_sort_stepPiiiiPKci
                                        ; -- End function
	.set _Z17bitonic_sort_stepPiiiiPKci.num_vgpr, 14
	.set _Z17bitonic_sort_stepPiiiiPKci.num_agpr, 0
	.set _Z17bitonic_sort_stepPiiiiPKci.numbered_sgpr, 15
	.set _Z17bitonic_sort_stepPiiiiPKci.num_named_barrier, 0
	.set _Z17bitonic_sort_stepPiiiiPKci.private_seg_size, 0
	.set _Z17bitonic_sort_stepPiiiiPKci.uses_vcc, 1
	.set _Z17bitonic_sort_stepPiiiiPKci.uses_flat_scratch, 0
	.set _Z17bitonic_sort_stepPiiiiPKci.has_dyn_sized_stack, 0
	.set _Z17bitonic_sort_stepPiiiiPKci.has_recursion, 0
	.set _Z17bitonic_sort_stepPiiiiPKci.has_indirect_call, 0
	.section	.AMDGPU.csdata,"",@progbits
; Kernel info:
; codeLenInByte = 732
; TotalNumSgprs: 17
; NumVgprs: 14
; ScratchSize: 0
; MemoryBound: 0
; FloatMode: 240
; IeeeMode: 1
; LDSByteSize: 0 bytes/workgroup (compile time only)
; SGPRBlocks: 0
; VGPRBlocks: 0
; NumSGPRsForWavesPerEU: 17
; NumVGPRsForWavesPerEU: 14
; NamedBarCnt: 0
; Occupancy: 16
; WaveLimiterHint : 0
; COMPUTE_PGM_RSRC2:SCRATCH_EN: 0
; COMPUTE_PGM_RSRC2:USER_SGPR: 2
; COMPUTE_PGM_RSRC2:TRAP_HANDLER: 0
; COMPUTE_PGM_RSRC2:TGID_X_EN: 1
; COMPUTE_PGM_RSRC2:TGID_Y_EN: 0
; COMPUTE_PGM_RSRC2:TGID_Z_EN: 0
; COMPUTE_PGM_RSRC2:TIDIG_COMP_CNT: 0
	.text
	.protected	_Z20reconstruct_sequencePKiPKcPci ; -- Begin function _Z20reconstruct_sequencePKiPKcPci
	.globl	_Z20reconstruct_sequencePKiPKcPci
	.p2align	8
	.type	_Z20reconstruct_sequencePKiPKcPci,@function
_Z20reconstruct_sequencePKiPKcPci:      ; @_Z20reconstruct_sequencePKiPKcPci
; %bb.0:
	s_clause 0x1
	s_load_b32 s4, s[0:1], 0x2c
	s_load_b32 s3, s[0:1], 0x18
	s_bfe_u32 s2, ttmp6, 0x4000c
	s_and_b32 s5, ttmp6, 15
	s_add_co_i32 s2, s2, 1
	s_getreg_b32 s6, hwreg(HW_REG_IB_STS2, 6, 4)
	s_mul_i32 s2, ttmp9, s2
	s_mov_b32 s12, 0
	s_add_co_i32 s5, s5, s2
	s_cmp_eq_u32 s6, 0
	s_cselect_b32 s2, ttmp9, s5
	s_mov_b32 s5, exec_lo
	s_wait_kmcnt 0x0
	s_and_b32 s4, s4, 0xffff
	s_delay_alu instid0(SALU_CYCLE_1) | instskip(NEXT) | instid1(VALU_DEP_1)
	v_mad_u32 v2, s2, s4, v0
	v_cmpx_gt_i32_e64 s3, v2
	s_cbranch_execz .LBB2_10
; %bb.1:
	s_add_nc_u64 s[6:7], s[0:1], 32
	s_mov_b32 s9, exec_lo
	s_load_b32 s5, s[6:7], 0x0
                                        ; implicit-def: $vgpr8
	s_wait_kmcnt 0x0
	s_mul_i32 s8, s5, s4
	s_add_co_i32 s2, s2, s5
	s_cvt_f32_u32 s6, s8
	s_mul_i32 s2, s2, s4
	s_delay_alu instid0(SALU_CYCLE_1) | instskip(NEXT) | instid1(SALU_CYCLE_1)
	v_add_nc_u32_e32 v3, s2, v0
	v_rcp_iflag_f32_e32 v1, s6
	s_delay_alu instid0(VALU_DEP_1) | instskip(NEXT) | instid1(TRANS32_DEP_1)
	v_cmp_gt_i32_e32 vcc_lo, s3, v3
	v_readfirstlane_b32 s4, v1
	v_max_i32_e32 v1, s3, v3
	v_add_co_ci_u32_e64 v0, null, s2, v0, vcc_lo
	s_mul_f32 s4, s4, 0x4f7ffffe
	v_sub_nc_u32_e32 v0, v1, v0
	s_delay_alu instid0(SALU_CYCLE_2) | instskip(SKIP_1) | instid1(SALU_CYCLE_2)
	s_cvt_u32_f32 s2, s4
	s_sub_co_i32 s4, 0, s8
	s_mul_i32 s4, s4, s2
	s_delay_alu instid0(SALU_CYCLE_1) | instskip(NEXT) | instid1(SALU_CYCLE_1)
	s_mul_hi_u32 s4, s2, s4
	s_add_co_i32 s2, s2, s4
	s_clause 0x1
	s_load_b128 s[4:7], s[0:1], 0x0
	s_load_b64 s[10:11], s[0:1], 0x10
	v_mul_hi_u32 v1, v0, s2
	s_delay_alu instid0(VALU_DEP_1) | instskip(NEXT) | instid1(VALU_DEP_1)
	v_mul_lo_u32 v3, v1, s8
	v_sub_nc_u32_e32 v0, v0, v3
	s_delay_alu instid0(VALU_DEP_1) | instskip(SKIP_1) | instid1(VALU_DEP_1)
	v_subrev_nc_u32_e32 v4, s8, v0
	v_cmp_le_u32_e64 s2, s8, v0
	v_dual_add_nc_u32 v3, 1, v1 :: v_dual_cndmask_b32 v0, v0, v4, s2
	s_delay_alu instid0(VALU_DEP_1) | instskip(SKIP_2) | instid1(VALU_DEP_2)
	v_cndmask_b32_e64 v1, v1, v3, s2
	s_add_co_i32 s2, s3, -1
	s_wait_xcnt 0x0
	v_cmp_le_u32_e64 s0, s8, v0
	s_delay_alu instid0(VALU_DEP_2) | instskip(NEXT) | instid1(VALU_DEP_1)
	v_add_nc_u32_e32 v3, 1, v1
	v_cndmask_b32_e64 v0, v1, v3, s0
                                        ; implicit-def: $sgpr0_sgpr1
	s_delay_alu instid0(VALU_DEP_1) | instskip(NEXT) | instid1(VALU_DEP_1)
	v_add_co_ci_u32_e64 v6, null, 1, v0, vcc_lo
	v_cmpx_lt_u32_e32 1, v6
	s_xor_b32 s9, exec_lo, s9
	s_cbranch_execnz .LBB2_4
; %bb.2:
	s_or_saveexec_b32 s9, s9
	v_mov_b64_e32 v[0:1], s[0:1]
	s_xor_b32 exec_lo, exec_lo, s9
	s_cbranch_execnz .LBB2_7
.LBB2_3:
	s_or_b32 exec_lo, exec_lo, s9
	s_delay_alu instid0(SALU_CYCLE_1)
	s_and_b32 exec_lo, exec_lo, s12
	s_cbranch_execnz .LBB2_8
	s_branch .LBB2_10
.LBB2_4:
	s_abs_i32 s12, s3
	v_dual_mov_b32 v1, 0 :: v_dual_bitop2_b32 v7, -2, v6 bitop3:0x40
	s_cvt_f32_u32 s0, s12
	v_add_nc_u32_e32 v3, s8, v2
	s_sub_co_i32 s15, 0, s12
	s_delay_alu instid0(VALU_DEP_2)
	v_mov_b32_e32 v8, v7
	v_rcp_iflag_f32_e32 v0, s0
	s_lshl_b32 s14, s8, 1
	v_mov_b64_e32 v[4:5], v[2:3]
	s_mov_b32 s1, 0
	s_mov_b32 s13, s2
	s_delay_alu instid0(TRANS32_DEP_1) | instskip(SKIP_1) | instid1(SALU_CYCLE_3)
	v_readfirstlane_b32 s0, v0
	s_mul_f32 s0, s0, 0x4f7ffffe
	s_cvt_u32_f32 s0, s0
	s_delay_alu instid0(SALU_CYCLE_3) | instskip(NEXT) | instid1(SALU_CYCLE_1)
	s_mul_i32 s15, s15, s0
	s_mul_hi_u32 s16, s0, s15
	s_mov_b32 s15, s14
	s_add_co_i32 s0, s0, s16
	s_mov_b32 s16, s1
.LBB2_5:                                ; =>This Inner Loop Header: Depth=1
	s_wait_kmcnt 0x0
	s_clause 0x1
	global_load_b32 v0, v4, s[4:5] scale_offset
	global_load_b32 v3, v5, s[4:5] scale_offset
	v_add_nc_u32_e32 v8, -2, v8
	s_wait_loadcnt 0x0
	v_dual_add_nc_u32 v9, s2, v0 :: v_dual_add_nc_u32 v3, s13, v3
	s_delay_alu instid0(VALU_DEP_1) | instskip(NEXT) | instid1(VALU_DEP_1)
	v_sub_nc_u32_e32 v0, 0, v9
	v_dual_ashrrev_i32 v9, 31, v9 :: v_dual_max_i32 v0, v9, v0
	s_delay_alu instid0(VALU_DEP_1) | instskip(NEXT) | instid1(VALU_DEP_1)
	v_mul_u64_e32 v[10:11], s[0:1], v[0:1]
	v_mul_lo_u32 v10, v11, s12
	s_delay_alu instid0(VALU_DEP_1) | instskip(NEXT) | instid1(VALU_DEP_1)
	v_dual_sub_nc_u32 v11, 0, v3 :: v_dual_sub_nc_u32 v12, v0, v10
	v_max_i32_e32 v0, v3, v11
	v_ashrrev_i32_e32 v3, 31, v3
	s_delay_alu instid0(VALU_DEP_3) | instskip(NEXT) | instid1(VALU_DEP_3)
	v_cmp_le_u32_e32 vcc_lo, s12, v12
	v_mul_u64_e32 v[10:11], s[0:1], v[0:1]
	s_delay_alu instid0(VALU_DEP_1) | instskip(NEXT) | instid1(VALU_DEP_1)
	v_mul_lo_u32 v10, v11, s12
	v_sub_nc_u32_e32 v0, v0, v10
	v_subrev_nc_u32_e32 v10, s12, v12
	s_delay_alu instid0(VALU_DEP_2) | instskip(NEXT) | instid1(VALU_DEP_2)
	v_subrev_nc_u32_e32 v11, s12, v0
	v_cndmask_b32_e32 v10, v12, v10, vcc_lo
	v_cmp_le_u32_e32 vcc_lo, s12, v0
	s_delay_alu instid0(VALU_DEP_3) | instskip(NEXT) | instid1(VALU_DEP_3)
	v_cndmask_b32_e32 v0, v0, v11, vcc_lo
	v_subrev_nc_u32_e32 v11, s12, v10
	v_cmp_le_u32_e32 vcc_lo, s12, v10
	s_delay_alu instid0(VALU_DEP_2) | instskip(NEXT) | instid1(VALU_DEP_4)
	v_cndmask_b32_e32 v10, v10, v11, vcc_lo
	v_subrev_nc_u32_e32 v12, s12, v0
	v_cmp_le_u32_e32 vcc_lo, s12, v0
	s_delay_alu instid0(VALU_DEP_2) | instskip(SKIP_1) | instid1(VALU_DEP_2)
	v_dual_cndmask_b32 v0, v0, v12, vcc_lo :: v_dual_bitop2_b32 v10, v10, v9 bitop3:0x14
	v_cmp_eq_u32_e32 vcc_lo, 0, v8
	v_dual_sub_nc_u32 v9, v10, v9 :: v_dual_bitop2_b32 v0, v0, v3 bitop3:0x14
	s_or_b32 s16, vcc_lo, s16
	s_delay_alu instid0(VALU_DEP_1)
	v_sub_nc_u32_e32 v0, v0, v3
	s_clause 0x1
	global_load_u8 v3, v9, s[6:7]
	global_load_u8 v10, v0, s[6:7]
	s_wait_loadcnt 0x1
	global_store_b8 v4, v3, s[10:11]
	s_wait_xcnt 0x0
	v_add_nc_u32_e32 v4, s14, v4
	s_wait_loadcnt 0x0
	global_store_b8 v5, v10, s[10:11]
	s_wait_xcnt 0x0
	v_add_nc_u32_e32 v5, s15, v5
	s_and_not1_b32 exec_lo, exec_lo, s16
	s_cbranch_execnz .LBB2_5
; %bb.6:
	s_or_b32 exec_lo, exec_lo, s16
	v_mad_u32 v2, v7, s8, v2
	v_cmp_ne_u32_e32 vcc_lo, v6, v7
	v_mov_b32_e32 v8, s12
	s_and_b32 s12, vcc_lo, exec_lo
	s_or_saveexec_b32 s9, s9
	v_mov_b64_e32 v[0:1], s[0:1]
	s_xor_b32 exec_lo, exec_lo, s9
	s_cbranch_execz .LBB2_3
.LBB2_7:
	s_abs_i32 s13, s3
	s_or_b32 s12, s12, exec_lo
	s_cvt_f32_u32 s0, s13
	s_sub_co_i32 s1, 0, s13
	v_mov_b32_e32 v8, s13
	s_delay_alu instid0(SALU_CYCLE_1) | instskip(SKIP_1) | instid1(TRANS32_DEP_1)
	v_rcp_iflag_f32_e32 v0, s0
	v_nop
	v_readfirstlane_b32 s0, v0
	s_mul_f32 s0, s0, 0x4f7ffffe
	s_delay_alu instid0(SALU_CYCLE_3) | instskip(NEXT) | instid1(SALU_CYCLE_3)
	s_cvt_u32_f32 s0, s0
	s_mul_i32 s1, s1, s0
	s_delay_alu instid0(SALU_CYCLE_1) | instskip(SKIP_2) | instid1(SALU_CYCLE_1)
	s_mul_hi_u32 s14, s0, s1
	s_mov_b32 s1, 0
	s_add_co_i32 s0, s0, s14
	v_mov_b64_e32 v[0:1], s[0:1]
	s_or_b32 exec_lo, exec_lo, s9
	s_delay_alu instid0(SALU_CYCLE_1)
	s_and_b32 exec_lo, exec_lo, s12
	s_cbranch_execz .LBB2_10
.LBB2_8:
	v_dual_ashrrev_i32 v3, 31, v2 :: v_dual_mov_b32 v7, 0
	s_ashr_i32 s9, s8, 31
	s_delay_alu instid0(SALU_CYCLE_1) | instskip(SKIP_1) | instid1(VALU_DEP_1)
	s_lshl_b64 s[0:1], s[8:9], 2
	s_wait_kmcnt 0x0
	v_lshl_add_u64 v[4:5], v[2:3], 2, s[4:5]
	s_mov_b32 s4, 0
.LBB2_9:                                ; =>This Inner Loop Header: Depth=1
	global_load_b32 v6, v[4:5], off
	s_wait_xcnt 0x0
	v_add_nc_u64_e32 v[4:5], s[0:1], v[4:5]
	s_wait_loadcnt 0x0
	v_add_nc_u32_e32 v9, s2, v6
	s_delay_alu instid0(VALU_DEP_1) | instskip(NEXT) | instid1(VALU_DEP_1)
	v_sub_nc_u32_e32 v6, 0, v9
	v_max_i32_e32 v6, v9, v6
	s_delay_alu instid0(VALU_DEP_1) | instskip(NEXT) | instid1(VALU_DEP_1)
	v_mul_u64_e32 v[10:11], v[6:7], v[0:1]
	v_mul_lo_u32 v10, v11, v8
	s_delay_alu instid0(VALU_DEP_1) | instskip(NEXT) | instid1(VALU_DEP_1)
	v_sub_nc_u32_e32 v6, v6, v10
	v_sub_nc_u32_e32 v10, v6, v8
	v_cmp_ge_u32_e32 vcc_lo, v6, v8
	s_delay_alu instid0(VALU_DEP_2) | instskip(NEXT) | instid1(VALU_DEP_1)
	v_dual_cndmask_b32 v6, v6, v10 :: v_dual_ashrrev_i32 v9, 31, v9
	v_sub_nc_u32_e32 v10, v6, v8
	v_cmp_ge_u32_e32 vcc_lo, v6, v8
	s_delay_alu instid0(VALU_DEP_2) | instskip(SKIP_2) | instid1(VALU_DEP_3)
	v_cndmask_b32_e32 v6, v6, v10, vcc_lo
	v_add_nc_u64_e32 v[10:11], s[10:11], v[2:3]
	v_add_nc_u64_e32 v[2:3], s[8:9], v[2:3]
	v_xor_b32_e32 v6, v6, v9
	s_delay_alu instid0(VALU_DEP_2) | instskip(NEXT) | instid1(VALU_DEP_2)
	v_cmp_le_i32_e32 vcc_lo, s3, v2
	v_sub_nc_u32_e32 v6, v6, v9
	s_or_b32 s4, vcc_lo, s4
	global_load_u8 v6, v6, s[6:7]
	s_wait_loadcnt 0x0
	global_store_b8 v[10:11], v6, off
	s_wait_xcnt 0x0
	s_and_not1_b32 exec_lo, exec_lo, s4
	s_cbranch_execnz .LBB2_9
.LBB2_10:
	s_endpgm
	.section	.rodata,"a",@progbits
	.p2align	6, 0x0
	.amdhsa_kernel _Z20reconstruct_sequencePKiPKcPci
		.amdhsa_group_segment_fixed_size 0
		.amdhsa_private_segment_fixed_size 0
		.amdhsa_kernarg_size 288
		.amdhsa_user_sgpr_count 2
		.amdhsa_user_sgpr_dispatch_ptr 0
		.amdhsa_user_sgpr_queue_ptr 0
		.amdhsa_user_sgpr_kernarg_segment_ptr 1
		.amdhsa_user_sgpr_dispatch_id 0
		.amdhsa_user_sgpr_kernarg_preload_length 0
		.amdhsa_user_sgpr_kernarg_preload_offset 0
		.amdhsa_user_sgpr_private_segment_size 0
		.amdhsa_wavefront_size32 1
		.amdhsa_uses_dynamic_stack 0
		.amdhsa_enable_private_segment 0
		.amdhsa_system_sgpr_workgroup_id_x 1
		.amdhsa_system_sgpr_workgroup_id_y 0
		.amdhsa_system_sgpr_workgroup_id_z 0
		.amdhsa_system_sgpr_workgroup_info 0
		.amdhsa_system_vgpr_workitem_id 0
		.amdhsa_next_free_vgpr 13
		.amdhsa_next_free_sgpr 17
		.amdhsa_named_barrier_count 0
		.amdhsa_reserve_vcc 1
		.amdhsa_float_round_mode_32 0
		.amdhsa_float_round_mode_16_64 0
		.amdhsa_float_denorm_mode_32 3
		.amdhsa_float_denorm_mode_16_64 3
		.amdhsa_fp16_overflow 0
		.amdhsa_memory_ordered 1
		.amdhsa_forward_progress 1
		.amdhsa_inst_pref_size 9
		.amdhsa_round_robin_scheduling 0
		.amdhsa_exception_fp_ieee_invalid_op 0
		.amdhsa_exception_fp_denorm_src 0
		.amdhsa_exception_fp_ieee_div_zero 0
		.amdhsa_exception_fp_ieee_overflow 0
		.amdhsa_exception_fp_ieee_underflow 0
		.amdhsa_exception_fp_ieee_inexact 0
		.amdhsa_exception_int_div_zero 0
	.end_amdhsa_kernel
	.text
.Lfunc_end2:
	.size	_Z20reconstruct_sequencePKiPKcPci, .Lfunc_end2-_Z20reconstruct_sequencePKiPKcPci
                                        ; -- End function
	.set _Z20reconstruct_sequencePKiPKcPci.num_vgpr, 13
	.set _Z20reconstruct_sequencePKiPKcPci.num_agpr, 0
	.set _Z20reconstruct_sequencePKiPKcPci.numbered_sgpr, 17
	.set _Z20reconstruct_sequencePKiPKcPci.num_named_barrier, 0
	.set _Z20reconstruct_sequencePKiPKcPci.private_seg_size, 0
	.set _Z20reconstruct_sequencePKiPKcPci.uses_vcc, 1
	.set _Z20reconstruct_sequencePKiPKcPci.uses_flat_scratch, 0
	.set _Z20reconstruct_sequencePKiPKcPci.has_dyn_sized_stack, 0
	.set _Z20reconstruct_sequencePKiPKcPci.has_recursion, 0
	.set _Z20reconstruct_sequencePKiPKcPci.has_indirect_call, 0
	.section	.AMDGPU.csdata,"",@progbits
; Kernel info:
; codeLenInByte = 1152
; TotalNumSgprs: 19
; NumVgprs: 13
; ScratchSize: 0
; MemoryBound: 0
; FloatMode: 240
; IeeeMode: 1
; LDSByteSize: 0 bytes/workgroup (compile time only)
; SGPRBlocks: 0
; VGPRBlocks: 0
; NumSGPRsForWavesPerEU: 19
; NumVGPRsForWavesPerEU: 13
; NamedBarCnt: 0
; Occupancy: 16
; WaveLimiterHint : 1
; COMPUTE_PGM_RSRC2:SCRATCH_EN: 0
; COMPUTE_PGM_RSRC2:USER_SGPR: 2
; COMPUTE_PGM_RSRC2:TRAP_HANDLER: 0
; COMPUTE_PGM_RSRC2:TGID_X_EN: 1
; COMPUTE_PGM_RSRC2:TGID_Y_EN: 0
; COMPUTE_PGM_RSRC2:TGID_Z_EN: 0
; COMPUTE_PGM_RSRC2:TIDIG_COMP_CNT: 0
	.text
	.p2alignl 7, 3214868480
	.fill 96, 4, 3214868480
	.section	.AMDGPU.gpr_maximums,"",@progbits
	.set amdgpu.max_num_vgpr, 0
	.set amdgpu.max_num_agpr, 0
	.set amdgpu.max_num_sgpr, 0
	.text
	.type	__hip_cuid_668ed24f4e6f2158,@object ; @__hip_cuid_668ed24f4e6f2158
	.section	.bss,"aw",@nobits
	.globl	__hip_cuid_668ed24f4e6f2158
__hip_cuid_668ed24f4e6f2158:
	.byte	0                               ; 0x0
	.size	__hip_cuid_668ed24f4e6f2158, 1

	.ident	"AMD clang version 22.0.0git (https://github.com/RadeonOpenCompute/llvm-project roc-7.2.4 26084 f58b06dce1f9c15707c5f808fd002e18c2accf7e)"
	.section	".note.GNU-stack","",@progbits
	.addrsig
	.addrsig_sym __hip_cuid_668ed24f4e6f2158
	.amdgpu_metadata
---
amdhsa.kernels:
  - .args:
      - .address_space:  global
        .offset:         0
        .size:           8
        .value_kind:     global_buffer
      - .offset:         8
        .size:           4
        .value_kind:     by_value
      - .offset:         12
        .size:           4
        .value_kind:     by_value
      - .offset:         16
        .size:           4
        .value_kind:     hidden_block_count_x
      - .offset:         20
        .size:           4
        .value_kind:     hidden_block_count_y
      - .offset:         24
        .size:           4
        .value_kind:     hidden_block_count_z
      - .offset:         28
        .size:           2
        .value_kind:     hidden_group_size_x
      - .offset:         30
        .size:           2
        .value_kind:     hidden_group_size_y
      - .offset:         32
        .size:           2
        .value_kind:     hidden_group_size_z
      - .offset:         34
        .size:           2
        .value_kind:     hidden_remainder_x
      - .offset:         36
        .size:           2
        .value_kind:     hidden_remainder_y
      - .offset:         38
        .size:           2
        .value_kind:     hidden_remainder_z
      - .offset:         56
        .size:           8
        .value_kind:     hidden_global_offset_x
      - .offset:         64
        .size:           8
        .value_kind:     hidden_global_offset_y
      - .offset:         72
        .size:           8
        .value_kind:     hidden_global_offset_z
      - .offset:         80
        .size:           2
        .value_kind:     hidden_grid_dims
    .group_segment_fixed_size: 0
    .kernarg_segment_align: 8
    .kernarg_segment_size: 272
    .language:       OpenCL C
    .language_version:
      - 2
      - 0
    .max_flat_workgroup_size: 1024
    .name:           _Z14generate_tablePiii
    .private_segment_fixed_size: 0
    .sgpr_count:     13
    .sgpr_spill_count: 0
    .symbol:         _Z14generate_tablePiii.kd
    .uniform_work_group_size: 1
    .uses_dynamic_stack: false
    .vgpr_count:     8
    .vgpr_spill_count: 0
    .wavefront_size: 32
  - .args:
      - .address_space:  global
        .offset:         0
        .size:           8
        .value_kind:     global_buffer
      - .offset:         8
        .size:           4
        .value_kind:     by_value
      - .offset:         12
        .size:           4
        .value_kind:     by_value
      - .offset:         16
        .size:           4
        .value_kind:     by_value
      - .actual_access:  read_only
        .address_space:  global
        .offset:         24
        .size:           8
        .value_kind:     global_buffer
      - .offset:         32
        .size:           4
        .value_kind:     by_value
      - .offset:         40
        .size:           4
        .value_kind:     hidden_block_count_x
      - .offset:         44
        .size:           4
        .value_kind:     hidden_block_count_y
      - .offset:         48
        .size:           4
        .value_kind:     hidden_block_count_z
      - .offset:         52
        .size:           2
        .value_kind:     hidden_group_size_x
      - .offset:         54
        .size:           2
        .value_kind:     hidden_group_size_y
      - .offset:         56
        .size:           2
        .value_kind:     hidden_group_size_z
      - .offset:         58
        .size:           2
        .value_kind:     hidden_remainder_x
      - .offset:         60
        .size:           2
        .value_kind:     hidden_remainder_y
      - .offset:         62
        .size:           2
        .value_kind:     hidden_remainder_z
      - .offset:         80
        .size:           8
        .value_kind:     hidden_global_offset_x
      - .offset:         88
        .size:           8
        .value_kind:     hidden_global_offset_y
      - .offset:         96
        .size:           8
        .value_kind:     hidden_global_offset_z
      - .offset:         104
        .size:           2
        .value_kind:     hidden_grid_dims
    .group_segment_fixed_size: 0
    .kernarg_segment_align: 8
    .kernarg_segment_size: 296
    .language:       OpenCL C
    .language_version:
      - 2
      - 0
    .max_flat_workgroup_size: 1024
    .name:           _Z17bitonic_sort_stepPiiiiPKci
    .private_segment_fixed_size: 0
    .sgpr_count:     17
    .sgpr_spill_count: 0
    .symbol:         _Z17bitonic_sort_stepPiiiiPKci.kd
    .uniform_work_group_size: 1
    .uses_dynamic_stack: false
    .vgpr_count:     14
    .vgpr_spill_count: 0
    .wavefront_size: 32
  - .args:
      - .actual_access:  read_only
        .address_space:  global
        .offset:         0
        .size:           8
        .value_kind:     global_buffer
      - .actual_access:  read_only
        .address_space:  global
        .offset:         8
        .size:           8
        .value_kind:     global_buffer
      - .actual_access:  write_only
        .address_space:  global
        .offset:         16
        .size:           8
        .value_kind:     global_buffer
      - .offset:         24
        .size:           4
        .value_kind:     by_value
      - .offset:         32
        .size:           4
        .value_kind:     hidden_block_count_x
      - .offset:         36
        .size:           4
        .value_kind:     hidden_block_count_y
      - .offset:         40
        .size:           4
        .value_kind:     hidden_block_count_z
      - .offset:         44
        .size:           2
        .value_kind:     hidden_group_size_x
      - .offset:         46
        .size:           2
        .value_kind:     hidden_group_size_y
      - .offset:         48
        .size:           2
        .value_kind:     hidden_group_size_z
      - .offset:         50
        .size:           2
        .value_kind:     hidden_remainder_x
      - .offset:         52
        .size:           2
        .value_kind:     hidden_remainder_y
      - .offset:         54
        .size:           2
        .value_kind:     hidden_remainder_z
      - .offset:         72
        .size:           8
        .value_kind:     hidden_global_offset_x
      - .offset:         80
        .size:           8
        .value_kind:     hidden_global_offset_y
      - .offset:         88
        .size:           8
        .value_kind:     hidden_global_offset_z
      - .offset:         96
        .size:           2
        .value_kind:     hidden_grid_dims
    .group_segment_fixed_size: 0
    .kernarg_segment_align: 8
    .kernarg_segment_size: 288
    .language:       OpenCL C
    .language_version:
      - 2
      - 0
    .max_flat_workgroup_size: 1024
    .name:           _Z20reconstruct_sequencePKiPKcPci
    .private_segment_fixed_size: 0
    .sgpr_count:     19
    .sgpr_spill_count: 0
    .symbol:         _Z20reconstruct_sequencePKiPKcPci.kd
    .uniform_work_group_size: 1
    .uses_dynamic_stack: false
    .vgpr_count:     13
    .vgpr_spill_count: 0
    .wavefront_size: 32
amdhsa.target:   amdgcn-amd-amdhsa--gfx1250
amdhsa.version:
  - 1
  - 2
...

	.end_amdgpu_metadata
